;; amdgpu-corpus repo=ROCm/rocFFT kind=compiled arch=gfx906 opt=O3
	.text
	.amdgcn_target "amdgcn-amd-amdhsa--gfx906"
	.amdhsa_code_object_version 6
	.protected	bluestein_single_back_len2048_dim1_dp_op_CI_CI ; -- Begin function bluestein_single_back_len2048_dim1_dp_op_CI_CI
	.globl	bluestein_single_back_len2048_dim1_dp_op_CI_CI
	.p2align	8
	.type	bluestein_single_back_len2048_dim1_dp_op_CI_CI,@function
bluestein_single_back_len2048_dim1_dp_op_CI_CI: ; @bluestein_single_back_len2048_dim1_dp_op_CI_CI
; %bb.0:
	s_load_dwordx4 s[0:3], s[4:5], 0x28
	s_mov_b32 s7, 0
	s_waitcnt lgkmcnt(0)
	v_mov_b32_e32 v1, s0
	v_mov_b32_e32 v2, s1
	v_cmp_lt_u64_e32 vcc, s[6:7], v[1:2]
	s_and_saveexec_b64 s[0:1], vcc
	s_cbranch_execz .LBB0_23
; %bb.1:
	s_load_dwordx2 s[12:13], s[4:5], 0x0
	s_load_dwordx2 s[14:15], s[4:5], 0x38
	v_mov_b32_e32 v154, s7
	s_movk_i32 s0, 0x80
	v_mov_b32_e32 v153, s6
	v_cmp_gt_u32_e32 vcc, s0, v0
	v_lshlrev_b32_e32 v154, 4, v0
	s_and_saveexec_b64 s[6:7], vcc
	s_cbranch_execz .LBB0_3
; %bb.2:
	s_load_dwordx2 s[0:1], s[4:5], 0x18
	v_or_b32_e32 v10, 0x80, v0
	v_mov_b32_e32 v9, s3
	v_or_b32_e32 v18, 0x180, v0
	v_or_b32_e32 v32, 0x1000, v154
	s_waitcnt lgkmcnt(0)
	s_load_dwordx4 s[8:11], s[0:1], 0x0
	v_lshlrev_b32_e32 v33, 4, v18
	v_or_b32_e32 v37, 0x280, v0
	v_or_b32_e32 v68, 0x380, v0
	;; [unrolled: 1-line block ×3, first 2 shown]
	s_waitcnt lgkmcnt(0)
	v_mad_u64_u32 v[1:2], s[0:1], s10, v153, 0
	v_mad_u64_u32 v[3:4], s[0:1], s8, v0, 0
	v_or_b32_e32 v122, 0x780, v0
	v_lshlrev_b32_e32 v51, 4, v37
	v_mad_u64_u32 v[5:6], s[0:1], s11, v153, v[2:3]
	v_lshlrev_b32_e32 v54, 4, v122
	v_or_b32_e32 v100, 0x580, v0
	v_mad_u64_u32 v[6:7], s[0:1], s9, v0, v[4:5]
	v_mad_u64_u32 v[7:8], s[0:1], s8, v10, 0
	v_mov_b32_e32 v2, v5
	v_lshlrev_b64 v[1:2], 4, v[1:2]
	v_mov_b32_e32 v4, v6
	v_add_co_u32_e64 v29, s[0:1], s2, v1
	v_addc_co_u32_e64 v30, s[0:1], v9, v2, s[0:1]
	v_lshlrev_b64 v[1:2], 4, v[3:4]
	v_mov_b32_e32 v3, v8
	v_mad_u64_u32 v[3:4], s[0:1], s9, v10, v[3:4]
	v_add_co_u32_e64 v13, s[0:1], v29, v1
	v_mov_b32_e32 v8, v3
	v_addc_co_u32_e64 v14, s[0:1], v30, v2, s[0:1]
	v_lshlrev_b64 v[1:2], 4, v[7:8]
	s_lshl_b64 s[2:3], s[8:9], 12
	v_add_co_u32_e64 v9, s[0:1], v29, v1
	v_addc_co_u32_e64 v10, s[0:1], v30, v2, s[0:1]
	v_mad_u64_u32 v[15:16], s[0:1], s8, v18, 0
	v_mov_b32_e32 v31, s3
	global_load_dwordx4 v[1:4], v[13:14], off
	global_load_dwordx4 v[5:8], v[9:10], off
	v_mad_u64_u32 v[16:17], s[0:1], s9, v18, v[16:17]
	v_add_co_u32_e64 v52, s[0:1], s2, v13
	v_addc_co_u32_e64 v53, s[0:1], v14, v31, s[0:1]
	v_lshlrev_b64 v[13:14], 4, v[15:16]
	global_load_dwordx4 v[9:12], v154, s[12:13] offset:2048
	v_add_co_u32_e64 v13, s[0:1], v29, v13
	v_addc_co_u32_e64 v14, s[0:1], v30, v14, s[0:1]
	global_load_dwordx4 v[13:16], v[13:14], off
	s_nop 0
	global_load_dwordx4 v[25:28], v33, s[12:13]
	global_load_dwordx4 v[17:20], v32, s[12:13]
	global_load_dwordx4 v[21:24], v[52:53], off
	v_or_b32_e32 v32, 0x2000, v154
	global_load_dwordx4 v[32:35], v32, s[12:13]
	v_mad_u64_u32 v[48:49], s[0:1], s8, v37, 0
	v_mad_u64_u32 v[64:65], s[0:1], s8, v68, 0
	v_mov_b32_e32 v36, v49
	v_mad_u64_u32 v[49:50], s[0:1], s9, v37, v[36:37]
	v_mov_b32_e32 v56, v65
	global_load_dwordx4 v[36:39], v51, s[12:13]
	global_load_dwordx4 v[40:43], v154, s[12:13]
	;; [unrolled: 1-line block ×3, first 2 shown]
	v_lshlrev_b64 v[48:49], 4, v[48:49]
	v_or_b32_e32 v116, 0x680, v0
	v_add_co_u32_e64 v48, s[0:1], v29, v48
	v_addc_co_u32_e64 v49, s[0:1], v30, v49, s[0:1]
	v_add_co_u32_e64 v57, s[0:1], s2, v52
	v_addc_co_u32_e64 v58, s[0:1], v53, v31, s[0:1]
	;; [unrolled: 2-line block ×3, first 2 shown]
	v_mad_u64_u32 v[65:66], s[0:1], s9, v68, v[56:57]
	global_load_dwordx4 v[52:55], v[57:58], off
	v_or_b32_e32 v60, 0x3000, v154
	v_lshlrev_b64 v[64:65], 4, v[64:65]
	global_load_dwordx4 v[48:51], v[48:49], off
	v_add_co_u32_e64 v64, s[0:1], v29, v64
	v_addc_co_u32_e64 v65, s[0:1], v30, v65, s[0:1]
	v_mad_u64_u32 v[80:81], s[0:1], s8, v84, 0
	global_load_dwordx4 v[64:67], v[64:65], off
	v_add_co_u32_e64 v88, s[0:1], s2, v72
	global_load_dwordx4 v[56:59], v[72:73], off
	v_mov_b32_e32 v72, v81
	v_addc_co_u32_e64 v89, s[0:1], v73, v31, s[0:1]
	v_mad_u64_u32 v[81:82], s[0:1], s9, v84, v[72:73]
	global_load_dwordx4 v[72:75], v[88:89], off
	v_lshlrev_b32_e32 v68, 4, v68
	v_lshlrev_b64 v[80:81], 4, v[80:81]
	global_load_dwordx4 v[60:63], v60, s[12:13]
	v_add_co_u32_e64 v80, s[0:1], v29, v80
	v_addc_co_u32_e64 v81, s[0:1], v30, v81, s[0:1]
	v_mad_u64_u32 v[96:97], s[0:1], s8, v100, 0
	global_load_dwordx4 v[80:83], v[80:81], off
	v_add_co_u32_e64 v104, s[0:1], s2, v88
	v_mov_b32_e32 v88, v97
	v_addc_co_u32_e64 v105, s[0:1], v89, v31, s[0:1]
	v_mad_u64_u32 v[97:98], s[0:1], s9, v100, v[88:89]
	global_load_dwordx4 v[88:91], v[104:105], off
	v_or_b32_e32 v76, 0x4000, v154
	v_lshlrev_b64 v[96:97], 4, v[96:97]
	global_load_dwordx4 v[68:71], v68, s[12:13]
	v_add_co_u32_e64 v96, s[0:1], v29, v96
	global_load_dwordx4 v[76:79], v76, s[12:13]
	v_addc_co_u32_e64 v97, s[0:1], v30, v97, s[0:1]
	v_mad_u64_u32 v[112:113], s[0:1], s8, v116, 0
	v_add_co_u32_e64 v120, s[0:1], s2, v104
	v_mov_b32_e32 v104, v113
	v_addc_co_u32_e64 v121, s[0:1], v105, v31, s[0:1]
	v_mad_u64_u32 v[113:114], s[0:1], s9, v116, v[104:105]
	global_load_dwordx4 v[104:107], v[120:121], off
	v_lshlrev_b32_e32 v84, 4, v84
	v_lshlrev_b64 v[112:113], 4, v[112:113]
	global_load_dwordx4 v[84:87], v84, s[12:13]
	v_add_co_u32_e64 v112, s[0:1], v29, v112
	v_addc_co_u32_e64 v113, s[0:1], v30, v113, s[0:1]
	v_mad_u64_u32 v[128:129], s[0:1], s8, v122, 0
	v_add_co_u32_e64 v120, s[0:1], s2, v120
	v_addc_co_u32_e64 v121, s[0:1], v121, v31, s[0:1]
	v_mov_b32_e32 v31, v129
	s_waitcnt vmcnt(15)
	v_mad_u64_u32 v[129:130], s[0:1], s9, v122, v[31:32]
	v_or_b32_e32 v92, 0x5000, v154
	global_load_dwordx4 v[92:95], v92, s[12:13]
	v_lshlrev_b32_e32 v100, 4, v100
	global_load_dwordx4 v[96:99], v[96:97], off
	v_or_b32_e32 v108, 0x6000, v154
	global_load_dwordx4 v[100:103], v100, s[12:13]
	v_lshlrev_b64 v[128:129], 4, v[128:129]
	global_load_dwordx4 v[108:111], v108, s[12:13]
	v_lshlrev_b32_e32 v116, 4, v116
	global_load_dwordx4 v[112:115], v[112:113], off
	v_or_b32_e32 v31, 0x7000, v154
	global_load_dwordx4 v[116:119], v116, s[12:13]
	v_add_co_u32_e64 v29, s[0:1], v29, v128
	global_load_dwordx4 v[120:123], v[120:121], off
	v_addc_co_u32_e64 v30, s[0:1], v30, v129, s[0:1]
	global_load_dwordx4 v[124:127], v31, s[12:13]
	global_load_dwordx4 v[128:131], v[29:30], off
	v_mul_f64 v[132:133], v[7:8], v[11:12]
	v_mul_f64 v[11:12], v[5:6], v[11:12]
	;; [unrolled: 1-line block ×6, first 2 shown]
	s_waitcnt vmcnt(22)
	v_mul_f64 v[29:30], v[3:4], v[42:43]
	v_mul_f64 v[42:43], v[1:2], v[42:43]
	v_fma_f64 v[5:6], v[5:6], v[9:10], v[132:133]
	v_fma_f64 v[7:8], v[7:8], v[9:10], -v[11:12]
	v_fma_f64 v[9:10], v[13:14], v[25:26], v[134:135]
	v_fma_f64 v[11:12], v[15:16], v[25:26], -v[27:28]
	;; [unrolled: 2-line block ×3, first 2 shown]
	s_waitcnt vmcnt(20)
	v_mul_f64 v[17:18], v[54:55], v[34:35]
	v_mul_f64 v[19:20], v[52:53], v[34:35]
	s_waitcnt vmcnt(19)
	v_mul_f64 v[21:22], v[50:51], v[38:39]
	v_mul_f64 v[23:24], v[48:49], v[38:39]
	;; [unrolled: 3-line block ×3, first 2 shown]
	v_fma_f64 v[1:2], v[1:2], v[40:41], v[29:30]
	v_fma_f64 v[3:4], v[3:4], v[40:41], -v[42:43]
	v_fma_f64 v[17:18], v[52:53], v[32:33], v[17:18]
	v_fma_f64 v[19:20], v[54:55], v[32:33], -v[19:20]
	v_fma_f64 v[21:22], v[48:49], v[36:37], v[21:22]
	v_fma_f64 v[23:24], v[50:51], v[36:37], -v[23:24]
	v_fma_f64 v[25:26], v[56:57], v[60:61], v[25:26]
	v_fma_f64 v[27:28], v[58:59], v[60:61], -v[27:28]
	s_waitcnt vmcnt(12)
	v_mul_f64 v[29:30], v[66:67], v[70:71]
	v_mul_f64 v[34:35], v[64:65], v[70:71]
	v_fma_f64 v[29:30], v[64:65], v[68:69], v[29:30]
	v_fma_f64 v[31:32], v[66:67], v[68:69], -v[34:35]
	ds_write_b128 v154, v[1:4]
	ds_write_b128 v154, v[5:8] offset:2048
	ds_write_b128 v154, v[13:16] offset:4096
	;; [unrolled: 1-line block ×7, first 2 shown]
	s_waitcnt vmcnt(11)
	v_mul_f64 v[1:2], v[74:75], v[78:79]
	v_mul_f64 v[3:4], v[72:73], v[78:79]
	s_waitcnt vmcnt(9)
	v_mul_f64 v[5:6], v[82:83], v[86:87]
	v_mul_f64 v[7:8], v[80:81], v[86:87]
	v_fma_f64 v[1:2], v[72:73], v[76:77], v[1:2]
	v_fma_f64 v[3:4], v[74:75], v[76:77], -v[3:4]
	v_fma_f64 v[5:6], v[80:81], v[84:85], v[5:6]
	v_fma_f64 v[7:8], v[82:83], v[84:85], -v[7:8]
	s_waitcnt vmcnt(8)
	v_mul_f64 v[9:10], v[90:91], v[94:95]
	v_mul_f64 v[11:12], v[88:89], v[94:95]
	s_waitcnt vmcnt(6)
	v_mul_f64 v[13:14], v[98:99], v[102:103]
	v_mul_f64 v[15:16], v[96:97], v[102:103]
	;; [unrolled: 3-line block ×3, first 2 shown]
	v_fma_f64 v[9:10], v[88:89], v[92:93], v[9:10]
	v_fma_f64 v[11:12], v[90:91], v[92:93], -v[11:12]
	s_waitcnt vmcnt(3)
	v_mul_f64 v[21:22], v[114:115], v[118:119]
	v_mul_f64 v[23:24], v[112:113], v[118:119]
	v_fma_f64 v[13:14], v[96:97], v[100:101], v[13:14]
	v_fma_f64 v[15:16], v[98:99], v[100:101], -v[15:16]
	v_fma_f64 v[17:18], v[104:105], v[108:109], v[17:18]
	v_fma_f64 v[19:20], v[106:107], v[108:109], -v[19:20]
	s_waitcnt vmcnt(1)
	v_mul_f64 v[25:26], v[122:123], v[126:127]
	v_mul_f64 v[27:28], v[120:121], v[126:127]
	s_waitcnt vmcnt(0)
	v_mul_f64 v[29:30], v[130:131], v[46:47]
	v_mul_f64 v[31:32], v[128:129], v[46:47]
	v_fma_f64 v[21:22], v[112:113], v[116:117], v[21:22]
	v_fma_f64 v[23:24], v[114:115], v[116:117], -v[23:24]
	v_fma_f64 v[25:26], v[120:121], v[124:125], v[25:26]
	v_fma_f64 v[27:28], v[122:123], v[124:125], -v[27:28]
	;; [unrolled: 2-line block ×3, first 2 shown]
	ds_write_b128 v154, v[1:4] offset:16384
	ds_write_b128 v154, v[5:8] offset:18432
	;; [unrolled: 1-line block ×8, first 2 shown]
.LBB0_3:
	s_or_b64 exec, exec, s[6:7]
	s_waitcnt lgkmcnt(0)
	s_barrier
	s_waitcnt lgkmcnt(0)
                                        ; implicit-def: $vgpr1_vgpr2
                                        ; implicit-def: $vgpr29_vgpr30
                                        ; implicit-def: $vgpr49_vgpr50
                                        ; implicit-def: $vgpr61_vgpr62
                                        ; implicit-def: $vgpr45_vgpr46
                                        ; implicit-def: $vgpr53_vgpr54
                                        ; implicit-def: $vgpr33_vgpr34
                                        ; implicit-def: $vgpr41_vgpr42
                                        ; implicit-def: $vgpr37_vgpr38
                                        ; implicit-def: $vgpr57_vgpr58
                                        ; implicit-def: $vgpr25_vgpr26
                                        ; implicit-def: $vgpr17_vgpr18
                                        ; implicit-def: $vgpr21_vgpr22
                                        ; implicit-def: $vgpr9_vgpr10
                                        ; implicit-def: $vgpr13_vgpr14
                                        ; implicit-def: $vgpr5_vgpr6
	s_and_saveexec_b64 s[0:1], vcc
	s_cbranch_execz .LBB0_5
; %bb.4:
	ds_read_b128 v[1:4], v154
	ds_read_b128 v[5:8], v154 offset:2048
	ds_read_b128 v[13:16], v154 offset:4096
	;; [unrolled: 1-line block ×13, first 2 shown]
	v_or_b32_e32 v49, 0x3800, v154
	v_or_b32_e32 v50, 0x7800, v154
	ds_read_b128 v[57:60], v49
	ds_read_b128 v[49:52], v50
.LBB0_5:
	s_or_b64 exec, exec, s[0:1]
	s_waitcnt lgkmcnt(8)
	v_add_f64 v[37:38], v[1:2], -v[37:38]
	v_add_f64 v[39:40], v[3:4], -v[39:40]
	s_waitcnt lgkmcnt(4)
	v_add_f64 v[53:54], v[21:22], -v[53:54]
	v_add_f64 v[55:56], v[23:24], -v[55:56]
	;; [unrolled: 1-line block ×4, first 2 shown]
	s_waitcnt lgkmcnt(2)
	v_add_f64 v[61:62], v[25:26], -v[61:62]
	v_add_f64 v[63:64], v[27:28], -v[63:64]
	;; [unrolled: 1-line block ×6, first 2 shown]
	s_waitcnt lgkmcnt(0)
	v_add_f64 v[49:50], v[57:58], -v[49:50]
	v_add_f64 v[51:52], v[59:60], -v[51:52]
	v_fma_f64 v[1:2], v[1:2], 2.0, -v[37:38]
	v_fma_f64 v[21:22], v[21:22], 2.0, -v[53:54]
	;; [unrolled: 1-line block ×6, first 2 shown]
	v_add_f64 v[31:32], v[7:8], -v[31:32]
	v_add_f64 v[35:36], v[11:12], -v[35:36]
	v_fma_f64 v[5:6], v[5:6], 2.0, -v[29:30]
	v_fma_f64 v[17:18], v[17:18], 2.0, -v[45:46]
	;; [unrolled: 1-line block ×6, first 2 shown]
	v_add_f64 v[55:56], v[37:38], -v[55:56]
	v_add_f64 v[53:54], v[39:40], v[53:54]
	v_add_f64 v[63:64], v[41:42], -v[63:64]
	v_add_f64 v[61:62], v[61:62], v[43:44]
	v_add_f64 v[47:48], v[29:30], -v[47:48]
	v_add_f64 v[51:52], v[33:34], -v[51:52]
	s_mov_b32 s0, 0x667f3bcd
	s_mov_b32 s1, 0xbfe6a09e
	;; [unrolled: 1-line block ×4, first 2 shown]
	v_fma_f64 v[3:4], v[3:4], 2.0, -v[39:40]
	v_fma_f64 v[15:16], v[15:16], 2.0, -v[43:44]
	;; [unrolled: 1-line block ×4, first 2 shown]
	v_add_f64 v[21:22], v[1:2], -v[21:22]
	v_add_f64 v[25:26], v[13:14], -v[25:26]
	v_fma_f64 v[37:38], v[37:38], 2.0, -v[55:56]
	v_fma_f64 v[39:40], v[39:40], 2.0, -v[53:54]
	;; [unrolled: 1-line block ×4, first 2 shown]
	v_add_f64 v[17:18], v[5:6], -v[17:18]
	v_add_f64 v[45:46], v[45:46], v[31:32]
	v_add_f64 v[57:58], v[9:10], -v[57:58]
	v_add_f64 v[49:50], v[49:50], v[35:36]
	v_fma_f64 v[29:30], v[29:30], 2.0, -v[47:48]
	v_fma_f64 v[33:34], v[33:34], 2.0, -v[51:52]
	v_fma_f64 v[69:70], v[63:64], s[2:3], v[55:56]
	v_add_f64 v[23:24], v[3:4], -v[23:24]
	v_add_f64 v[27:28], v[15:16], -v[27:28]
	v_fma_f64 v[1:2], v[1:2], 2.0, -v[21:22]
	v_fma_f64 v[13:14], v[13:14], 2.0, -v[25:26]
	v_add_f64 v[19:20], v[7:8], -v[19:20]
	v_add_f64 v[59:60], v[11:12], -v[59:60]
	v_fma_f64 v[5:6], v[5:6], 2.0, -v[17:18]
	v_fma_f64 v[31:32], v[31:32], 2.0, -v[45:46]
	;; [unrolled: 1-line block ×4, first 2 shown]
	v_fma_f64 v[65:66], v[41:42], s[0:1], v[37:38]
	v_fma_f64 v[67:68], v[43:44], s[0:1], v[39:40]
	;; [unrolled: 1-line block ×5, first 2 shown]
	v_fma_f64 v[3:4], v[3:4], 2.0, -v[23:24]
	v_fma_f64 v[15:16], v[15:16], 2.0, -v[27:28]
	;; [unrolled: 1-line block ×4, first 2 shown]
	v_add_f64 v[13:14], v[1:2], -v[13:14]
	v_fma_f64 v[43:44], v[43:44], s[0:1], v[65:66]
	v_fma_f64 v[41:42], v[41:42], s[2:3], v[67:68]
	;; [unrolled: 1-line block ×5, first 2 shown]
	v_add_f64 v[9:10], v[5:6], -v[9:10]
	v_fma_f64 v[35:36], v[35:36], s[0:1], v[61:62]
	v_add_f64 v[15:16], v[3:4], -v[15:16]
	v_add_f64 v[27:28], v[21:22], -v[27:28]
	v_add_f64 v[25:26], v[23:24], v[25:26]
	v_fma_f64 v[1:2], v[1:2], 2.0, -v[13:14]
	v_fma_f64 v[37:38], v[37:38], 2.0, -v[43:44]
	v_fma_f64 v[65:66], v[51:52], s[2:3], v[47:48]
	v_add_f64 v[11:12], v[7:8], -v[11:12]
	v_fma_f64 v[33:34], v[33:34], s[2:3], v[63:64]
	v_add_f64 v[59:60], v[17:18], -v[59:60]
	v_add_f64 v[57:58], v[57:58], v[19:20]
	v_fma_f64 v[51:52], v[51:52], s[2:3], v[67:68]
	v_fma_f64 v[5:6], v[5:6], 2.0, -v[9:10]
	v_fma_f64 v[29:30], v[29:30], 2.0, -v[35:36]
	s_mov_b32 s6, 0xcf328d46
	s_mov_b32 s7, 0xbfed906b
	v_fma_f64 v[3:4], v[3:4], 2.0, -v[15:16]
	v_fma_f64 v[39:40], v[39:40], 2.0, -v[41:42]
	;; [unrolled: 1-line block ×5, first 2 shown]
	v_fma_f64 v[49:50], v[49:50], s[0:1], v[65:66]
	v_fma_f64 v[7:8], v[7:8], 2.0, -v[11:12]
	v_fma_f64 v[31:32], v[31:32], 2.0, -v[33:34]
	;; [unrolled: 1-line block ×5, first 2 shown]
	v_add_f64 v[73:74], v[1:2], -v[5:6]
	v_fma_f64 v[5:6], v[29:30], s[6:7], v[37:38]
	s_mov_b32 s8, 0xa6aea964
	s_mov_b32 s9, 0xbfd87de2
	v_fma_f64 v[55:56], v[55:56], 2.0, -v[121:122]
	v_fma_f64 v[47:48], v[47:48], 2.0, -v[49:50]
	v_add_f64 v[75:76], v[3:4], -v[7:8]
	v_fma_f64 v[7:8], v[31:32], s[6:7], v[39:40]
	v_fma_f64 v[61:62], v[17:18], s[0:1], v[21:22]
	;; [unrolled: 1-line block ×5, first 2 shown]
	s_mov_b32 s11, 0x3fd87de2
	s_mov_b32 s10, s8
	;; [unrolled: 1-line block ×4, first 2 shown]
	v_fma_f64 v[65:66], v[47:48], s[8:9], v[55:56]
	v_fma_f64 v[87:88], v[29:30], s[10:11], v[7:8]
	v_fma_f64 v[93:94], v[19:20], s[0:1], v[61:62]
	v_fma_f64 v[95:96], v[17:18], s[2:3], v[63:64]
	v_fma_f64 v[99:100], v[47:48], s[16:17], v[5:6]
	v_fma_f64 v[61:62], v[1:2], 2.0, -v[73:74]
	v_fma_f64 v[63:64], v[3:4], 2.0, -v[75:76]
	v_fma_f64 v[1:2], v[35:36], s[10:11], v[43:44]
	v_fma_f64 v[3:4], v[33:34], s[10:11], v[41:42]
	;; [unrolled: 1-line block ×7, first 2 shown]
	v_add_f64 v[105:106], v[13:14], -v[11:12]
	v_add_f64 v[107:108], v[15:16], v[9:10]
	v_fma_f64 v[109:110], v[33:34], s[6:7], v[1:2]
	v_fma_f64 v[111:112], v[35:36], s[16:17], v[3:4]
	;; [unrolled: 1-line block ×6, first 2 shown]
	v_fma_f64 v[65:66], v[37:38], 2.0, -v[85:86]
	v_fma_f64 v[67:68], v[39:40], 2.0, -v[87:88]
	;; [unrolled: 1-line block ×14, first 2 shown]
	s_load_dwordx2 s[6:7], s[4:5], 0x8
	v_lshlrev_b32_e32 v159, 8, v0
	s_waitcnt lgkmcnt(0)
	s_barrier
	s_and_saveexec_b64 s[0:1], vcc
	s_cbranch_execz .LBB0_7
; %bb.6:
	ds_write_b128 v159, v[61:64]
	ds_write_b128 v159, v[65:68] offset:16
	ds_write_b128 v159, v[69:72] offset:32
	;; [unrolled: 1-line block ×15, first 2 shown]
.LBB0_7:
	s_or_b64 exec, exec, s[0:1]
	s_load_dwordx2 s[0:1], s[4:5], 0x20
	s_waitcnt lgkmcnt(0)
	s_barrier
	s_and_saveexec_b64 s[2:3], vcc
	s_cbranch_execz .LBB0_9
; %bb.8:
	ds_read_b128 v[61:64], v154
	ds_read_b128 v[65:68], v154 offset:2048
	ds_read_b128 v[69:72], v154 offset:4096
	;; [unrolled: 1-line block ×13, first 2 shown]
	v_or_b32_e32 v1, 0x3800, v154
	v_or_b32_e32 v2, 0x7800, v154
	ds_read_b128 v[121:124], v1
	ds_read_b128 v[117:120], v2
.LBB0_9:
	s_or_b64 exec, exec, s[2:3]
	v_mov_b32_e32 v1, s6
	v_and_b32_e32 v155, 15, v0
	s_movk_i32 s2, 0xf0
	v_mov_b32_e32 v2, s7
	v_mad_u64_u32 v[53:54], s[2:3], v155, s2, v[1:2]
	global_load_dwordx4 v[5:8], v[53:54], off
	global_load_dwordx4 v[17:20], v[53:54], off offset:16
	global_load_dwordx4 v[9:12], v[53:54], off offset:32
	;; [unrolled: 1-line block ×13, first 2 shown]
	s_nop 0
	global_load_dwordx4 v[53:56], v[53:54], off offset:224
	s_mov_b32 s4, 0x667f3bcd
	s_mov_b32 s5, 0xbfe6a09e
	;; [unrolled: 1-line block ×12, first 2 shown]
	s_waitcnt vmcnt(0) lgkmcnt(0)
	s_barrier
	v_mul_f64 v[125:126], v[67:68], v[7:8]
	v_mul_f64 v[129:130], v[71:72], v[19:20]
	;; [unrolled: 1-line block ×30, first 2 shown]
	v_fma_f64 v[65:66], v[65:66], v[5:6], -v[125:126]
	v_fma_f64 v[69:70], v[69:70], v[17:18], -v[129:130]
	;; [unrolled: 1-line block ×3, first 2 shown]
	v_fma_f64 v[83:84], v[83:84], v[1:2], v[139:140]
	v_fma_f64 v[91:92], v[91:92], v[21:22], v[143:144]
	;; [unrolled: 1-line block ×4, first 2 shown]
	v_fma_f64 v[73:74], v[73:74], v[13:14], -v[156:157]
	v_fma_f64 v[85:86], v[85:86], v[29:30], -v[162:163]
	;; [unrolled: 1-line block ×4, first 2 shown]
	v_fma_f64 v[107:108], v[107:108], v[45:46], v[176:177]
	v_fma_f64 v[111:112], v[111:112], v[49:50], v[180:181]
	;; [unrolled: 1-line block ×7, first 2 shown]
	v_fma_f64 v[81:82], v[81:82], v[1:2], -v[137:138]
	v_fma_f64 v[89:90], v[89:90], v[21:22], -v[141:142]
	;; [unrolled: 1-line block ×4, first 2 shown]
	v_fma_f64 v[75:76], v[75:76], v[13:14], v[160:161]
	v_fma_f64 v[87:88], v[87:88], v[29:30], v[164:165]
	;; [unrolled: 1-line block ×4, first 2 shown]
	v_fma_f64 v[105:106], v[105:106], v[45:46], -v[174:175]
	v_fma_f64 v[109:110], v[109:110], v[49:50], -v[178:179]
	;; [unrolled: 1-line block ×4, first 2 shown]
	v_add_f64 v[73:74], v[61:62], -v[73:74]
	v_add_f64 v[107:108], v[83:84], -v[107:108]
	;; [unrolled: 1-line block ×20, first 2 shown]
	v_fma_f64 v[125:126], v[61:62], 2.0, -v[73:74]
	v_add_f64 v[131:132], v[75:76], v[105:106]
	v_add_f64 v[135:136], v[95:96], v[113:114]
	;; [unrolled: 1-line block ×4, first 2 shown]
	v_fma_f64 v[61:62], v[73:74], 2.0, -v[129:130]
	v_fma_f64 v[73:74], v[93:94], 2.0, -v[133:134]
	;; [unrolled: 1-line block ×11, first 2 shown]
	v_fma_f64 v[69:70], v[73:74], s[4:5], v[61:62]
	v_fma_f64 v[93:94], v[147:148], s[4:5], v[145:146]
	v_fma_f64 v[83:84], v[83:84], 2.0, -v[107:108]
	v_fma_f64 v[95:96], v[71:72], 2.0, -v[95:96]
	v_fma_f64 v[71:72], v[75:76], s[4:5], v[63:64]
	v_fma_f64 v[107:108], v[149:150], s[4:5], v[151:152]
	v_fma_f64 v[101:102], v[101:102], 2.0, -v[113:114]
	v_fma_f64 v[103:104], v[103:104], 2.0, -v[115:116]
	v_fma_f64 v[85:86], v[65:66], 2.0, -v[85:86]
	v_fma_f64 v[113:114], v[67:68], 2.0, -v[87:88]
	v_fma_f64 v[67:68], v[75:76], s[4:5], v[69:70]
	v_fma_f64 v[115:116], v[149:150], s[4:5], v[93:94]
	v_fma_f64 v[65:66], v[89:90], 2.0, -v[109:110]
	v_fma_f64 v[69:70], v[91:92], 2.0, -v[111:112]
	;; [unrolled: 6-line block ×3, first 2 shown]
	v_fma_f64 v[73:74], v[123:124], 2.0, -v[119:120]
	v_add_f64 v[111:112], v[125:126], -v[81:82]
	v_add_f64 v[83:84], v[127:128], -v[83:84]
	;; [unrolled: 1-line block ×7, first 2 shown]
	v_fma_f64 v[65:66], v[133:134], s[8:9], v[129:130]
	v_fma_f64 v[69:70], v[139:140], s[8:9], v[137:138]
	;; [unrolled: 1-line block ×4, first 2 shown]
	v_fma_f64 v[63:64], v[63:64], 2.0, -v[71:72]
	v_fma_f64 v[89:90], v[151:152], 2.0, -v[107:108]
	v_add_f64 v[123:124], v[109:110], -v[73:74]
	v_add_f64 v[79:80], v[111:112], -v[103:104]
	v_add_f64 v[81:82], v[83:84], v[101:102]
	v_fma_f64 v[87:88], v[135:136], s[4:5], v[65:66]
	v_fma_f64 v[135:136], v[141:142], s[4:5], v[69:70]
	v_fma_f64 v[121:122], v[133:134], s[8:9], v[75:76]
	v_fma_f64 v[133:134], v[139:140], s[8:9], v[93:94]
	v_fma_f64 v[61:62], v[61:62], 2.0, -v[67:68]
	v_add_f64 v[147:148], v[117:118], -v[123:124]
	v_add_f64 v[149:150], v[119:120], v[145:146]
	v_fma_f64 v[65:66], v[111:112], 2.0, -v[79:80]
	v_fma_f64 v[73:74], v[83:84], 2.0, -v[81:82]
	;; [unrolled: 1-line block ×4, first 2 shown]
	v_fma_f64 v[137:138], v[89:90], s[2:3], v[63:64]
	v_fma_f64 v[75:76], v[131:132], 2.0, -v[121:122]
	v_fma_f64 v[131:132], v[143:144], 2.0, -v[133:134]
	;; [unrolled: 1-line block ×12, first 2 shown]
	v_fma_f64 v[93:94], v[91:92], s[2:3], v[61:62]
	v_fma_f64 v[143:144], v[129:130], s[10:11], v[69:70]
	;; [unrolled: 1-line block ×4, first 2 shown]
	v_add_f64 v[77:78], v[111:112], -v[83:84]
	v_add_f64 v[123:124], v[125:126], -v[101:102]
	;; [unrolled: 1-line block ×4, first 2 shown]
	v_fma_f64 v[139:140], v[99:100], s[4:5], v[65:66]
	v_fma_f64 v[141:142], v[97:98], s[4:5], v[73:74]
	;; [unrolled: 1-line block ×11, first 2 shown]
	v_fma_f64 v[83:84], v[111:112], 2.0, -v[77:78]
	v_fma_f64 v[85:86], v[125:126], 2.0, -v[123:124]
	;; [unrolled: 1-line block ×4, first 2 shown]
	v_fma_f64 v[97:98], v[97:98], s[4:5], v[139:140]
	v_fma_f64 v[99:100], v[99:100], s[8:9], v[141:142]
	;; [unrolled: 1-line block ×8, first 2 shown]
	v_add_f64 v[101:102], v[83:84], -v[103:104]
	v_add_f64 v[103:104], v[85:86], -v[111:112]
	;; [unrolled: 1-line block ×3, first 2 shown]
	v_add_f64 v[111:112], v[123:124], v[127:128]
	s_and_saveexec_b64 s[2:3], vcc
	s_cbranch_execz .LBB0_11
; %bb.10:
	v_fma_f64 v[85:86], v[85:86], 2.0, -v[103:104]
	v_fma_f64 v[83:84], v[83:84], 2.0, -v[101:102]
	;; [unrolled: 1-line block ×12, first 2 shown]
	s_movk_i32 s10, 0x700
	v_fma_f64 v[81:82], v[81:82], 2.0, -v[119:120]
	v_fma_f64 v[79:80], v[79:80], 2.0, -v[117:118]
	v_and_or_b32 v77, v154, s10, v155
	v_fma_f64 v[127:128], v[121:122], 2.0, -v[115:116]
	v_fma_f64 v[125:126], v[87:88], 2.0, -v[113:114]
	v_lshlrev_b32_e32 v77, 4, v77
	ds_write_b128 v77, v[83:86]
	ds_write_b128 v77, v[61:64] offset:256
	ds_write_b128 v77, v[73:76] offset:512
	ds_write_b128 v77, v[69:72] offset:768
	ds_write_b128 v77, v[65:68] offset:1024
	ds_write_b128 v77, v[129:132] offset:1280
	ds_write_b128 v77, v[79:82] offset:1536
	ds_write_b128 v77, v[125:128] offset:1792
	ds_write_b128 v77, v[101:104] offset:2048
	ds_write_b128 v77, v[89:92] offset:2304
	ds_write_b128 v77, v[97:100] offset:2560
	ds_write_b128 v77, v[93:96] offset:2816
	ds_write_b128 v77, v[109:112] offset:3072
	ds_write_b128 v77, v[105:108] offset:3328
	ds_write_b128 v77, v[117:120] offset:3584
	ds_write_b128 v77, v[113:116] offset:3840
.LBB0_11:
	s_or_b64 exec, exec, s[2:3]
	v_mov_b32_e32 v62, s7
	s_movk_i32 s10, 0x70
	v_mov_b32_e32 v61, s6
	v_mad_u64_u32 v[121:122], s[6:7], v0, s10, v[61:62]
	s_load_dwordx4 s[0:3], s[0:1], 0x0
	s_waitcnt lgkmcnt(0)
	s_barrier
	global_load_dwordx4 v[73:76], v[121:122], off offset:3840
	global_load_dwordx4 v[69:72], v[121:122], off offset:3856
	;; [unrolled: 1-line block ×7, first 2 shown]
	ds_read_b128 v[121:124], v154
	ds_read_b128 v[125:128], v154 offset:4096
	ds_read_b128 v[129:132], v154 offset:8192
	;; [unrolled: 1-line block ×7, first 2 shown]
	v_or_b32_e32 v156, 0x100, v0
	v_or_b32_e32 v157, 0x200, v0
	;; [unrolled: 1-line block ×4, first 2 shown]
	v_lshlrev_b32_e32 v163, 4, v156
	v_lshlrev_b32_e32 v162, 4, v157
	;; [unrolled: 1-line block ×4, first 2 shown]
	v_or_b32_e32 v158, 0x300, v0
	v_or_b32_e32 v160, 0x400, v0
	;; [unrolled: 1-line block ×3, first 2 shown]
	v_lshlrev_b32_e32 v161, 4, v158
	v_lshlrev_b32_e32 v160, 4, v160
	;; [unrolled: 1-line block ×3, first 2 shown]
	s_waitcnt vmcnt(6) lgkmcnt(6)
	v_mul_f64 v[164:165], v[127:128], v[75:76]
	v_mul_f64 v[166:167], v[125:126], v[75:76]
	s_waitcnt vmcnt(5) lgkmcnt(5)
	v_mul_f64 v[168:169], v[131:132], v[71:72]
	v_mul_f64 v[170:171], v[129:130], v[71:72]
	;; [unrolled: 3-line block ×7, first 2 shown]
	v_fma_f64 v[125:126], v[125:126], v[73:74], -v[164:165]
	v_fma_f64 v[127:128], v[127:128], v[73:74], v[166:167]
	v_fma_f64 v[129:130], v[129:130], v[69:70], -v[168:169]
	v_fma_f64 v[131:132], v[131:132], v[69:70], v[170:171]
	;; [unrolled: 2-line block ×7, first 2 shown]
	v_add_f64 v[137:138], v[121:122], -v[137:138]
	v_add_f64 v[139:140], v[123:124], -v[139:140]
	;; [unrolled: 1-line block ×8, first 2 shown]
	v_fma_f64 v[121:122], v[121:122], 2.0, -v[137:138]
	v_fma_f64 v[123:124], v[123:124], 2.0, -v[139:140]
	;; [unrolled: 1-line block ×6, first 2 shown]
	v_add_f64 v[164:165], v[137:138], -v[147:148]
	v_add_f64 v[166:167], v[139:140], v[145:146]
	v_fma_f64 v[133:134], v[133:134], 2.0, -v[149:150]
	v_fma_f64 v[135:136], v[135:136], 2.0, -v[151:152]
	v_add_f64 v[151:152], v[141:142], -v[151:152]
	v_add_f64 v[149:150], v[143:144], v[149:150]
	v_add_f64 v[129:130], v[121:122], -v[129:130]
	v_add_f64 v[131:132], v[123:124], -v[131:132]
	v_fma_f64 v[168:169], v[137:138], 2.0, -v[164:165]
	v_fma_f64 v[170:171], v[139:140], 2.0, -v[166:167]
	v_add_f64 v[133:134], v[125:126], -v[133:134]
	v_add_f64 v[135:136], v[127:128], -v[135:136]
	v_fma_f64 v[139:140], v[141:142], 2.0, -v[151:152]
	v_fma_f64 v[137:138], v[143:144], 2.0, -v[149:150]
	v_fma_f64 v[141:142], v[151:152], s[8:9], v[164:165]
	v_fma_f64 v[143:144], v[149:150], s[8:9], v[166:167]
	v_fma_f64 v[121:122], v[121:122], 2.0, -v[129:130]
	v_fma_f64 v[123:124], v[123:124], 2.0, -v[131:132]
	;; [unrolled: 1-line block ×4, first 2 shown]
	v_fma_f64 v[172:173], v[139:140], s[4:5], v[168:169]
	v_fma_f64 v[174:175], v[137:138], s[4:5], v[170:171]
	v_add_f64 v[145:146], v[129:130], -v[135:136]
	v_add_f64 v[147:148], v[131:132], v[133:134]
	v_fma_f64 v[149:150], v[149:150], s[4:5], v[141:142]
	v_fma_f64 v[151:152], v[151:152], s[8:9], v[143:144]
	v_add_f64 v[141:142], v[121:122], -v[125:126]
	v_add_f64 v[143:144], v[123:124], -v[127:128]
	v_fma_f64 v[137:138], v[137:138], s[4:5], v[172:173]
	v_fma_f64 v[139:140], v[139:140], s[8:9], v[174:175]
	v_fma_f64 v[133:134], v[129:130], 2.0, -v[145:146]
	v_fma_f64 v[135:136], v[131:132], 2.0, -v[147:148]
	;; [unrolled: 1-line block ×8, first 2 shown]
	ds_write_b128 v154, v[145:148] offset:24576
	ds_write_b128 v154, v[149:152] offset:28672
	;; [unrolled: 1-line block ×6, first 2 shown]
	ds_write_b128 v154, v[125:128]
	ds_write_b128 v154, v[121:124] offset:4096
	s_waitcnt lgkmcnt(0)
	s_barrier
	s_and_saveexec_b64 s[4:5], vcc
	s_cbranch_execz .LBB0_13
; %bb.12:
	s_add_u32 s6, s12, 0x8000
	s_addc_u32 s7, s13, 0
	ds_read_b128 v[164:167], v154
	global_load_dwordx4 v[168:171], v154, s[6:7]
	s_waitcnt vmcnt(0) lgkmcnt(0)
	v_mul_f64 v[172:173], v[166:167], v[170:171]
	v_fma_f64 v[172:173], v[164:165], v[168:169], -v[172:173]
	v_mul_f64 v[164:165], v[164:165], v[170:171]
	v_fma_f64 v[174:175], v[166:167], v[168:169], v[164:165]
	ds_read_b128 v[164:167], v154 offset:2048
	global_load_dwordx4 v[168:171], v154, s[6:7] offset:2048
	ds_write_b128 v154, v[172:175]
	s_waitcnt vmcnt(0) lgkmcnt(1)
	v_mul_f64 v[172:173], v[166:167], v[170:171]
	v_fma_f64 v[172:173], v[164:165], v[168:169], -v[172:173]
	v_mul_f64 v[164:165], v[164:165], v[170:171]
	v_fma_f64 v[174:175], v[166:167], v[168:169], v[164:165]
	global_load_dwordx4 v[168:171], v163, s[6:7]
	ds_read_b128 v[164:167], v154 offset:4096
	ds_write_b128 v154, v[172:175] offset:2048
	s_waitcnt vmcnt(0) lgkmcnt(1)
	v_mul_f64 v[172:173], v[166:167], v[170:171]
	v_fma_f64 v[172:173], v[164:165], v[168:169], -v[172:173]
	v_mul_f64 v[164:165], v[164:165], v[170:171]
	v_fma_f64 v[174:175], v[166:167], v[168:169], v[164:165]
	v_or_b32_e32 v168, 0x1800, v154
	global_load_dwordx4 v[168:171], v168, s[6:7]
	ds_read_b128 v[164:167], v154 offset:6144
	ds_write_b128 v154, v[172:175] offset:4096
	s_waitcnt vmcnt(0) lgkmcnt(1)
	v_mul_f64 v[172:173], v[166:167], v[170:171]
	v_fma_f64 v[172:173], v[164:165], v[168:169], -v[172:173]
	v_mul_f64 v[164:165], v[164:165], v[170:171]
	v_fma_f64 v[174:175], v[166:167], v[168:169], v[164:165]
	global_load_dwordx4 v[168:171], v162, s[6:7]
	ds_read_b128 v[164:167], v154 offset:8192
	ds_write_b128 v154, v[172:175] offset:6144
	s_waitcnt vmcnt(0) lgkmcnt(1)
	v_mul_f64 v[172:173], v[166:167], v[170:171]
	v_fma_f64 v[172:173], v[164:165], v[168:169], -v[172:173]
	v_mul_f64 v[164:165], v[164:165], v[170:171]
	v_fma_f64 v[174:175], v[166:167], v[168:169], v[164:165]
	v_or_b32_e32 v168, 0x2800, v154
	global_load_dwordx4 v[168:171], v168, s[6:7]
	ds_read_b128 v[164:167], v154 offset:10240
	ds_write_b128 v154, v[172:175] offset:8192
	;; [unrolled: 17-line block ×7, first 2 shown]
	s_waitcnt vmcnt(0) lgkmcnt(1)
	v_mul_f64 v[172:173], v[166:167], v[170:171]
	v_fma_f64 v[172:173], v[164:165], v[168:169], -v[172:173]
	v_mul_f64 v[164:165], v[164:165], v[170:171]
	v_fma_f64 v[174:175], v[166:167], v[168:169], v[164:165]
	ds_write_b128 v154, v[172:175] offset:30720
.LBB0_13:
	s_or_b64 exec, exec, s[4:5]
	s_waitcnt lgkmcnt(0)
	s_barrier
	s_and_saveexec_b64 s[4:5], vcc
	s_cbranch_execz .LBB0_15
; %bb.14:
	ds_read_b128 v[125:128], v154
	ds_read_b128 v[121:124], v154 offset:2048
	ds_read_b128 v[133:136], v154 offset:4096
	;; [unrolled: 1-line block ×13, first 2 shown]
	v_or_b32_e32 v113, 0x3800, v154
	v_or_b32_e32 v114, 0x7800, v154
	ds_read_b128 v[149:152], v113
	ds_read_b128 v[113:116], v114
.LBB0_15:
	s_or_b64 exec, exec, s[4:5]
	s_waitcnt lgkmcnt(8)
	v_add_f64 v[101:102], v[125:126], -v[101:102]
	v_add_f64 v[103:104], v[127:128], -v[103:104]
	s_waitcnt lgkmcnt(4)
	v_add_f64 v[109:110], v[141:142], -v[109:110]
	v_add_f64 v[111:112], v[143:144], -v[111:112]
	;; [unrolled: 1-line block ×4, first 2 shown]
	s_waitcnt lgkmcnt(2)
	v_add_f64 v[117:118], v[145:146], -v[117:118]
	v_add_f64 v[119:120], v[147:148], -v[119:120]
	v_fma_f64 v[125:126], v[125:126], 2.0, -v[101:102]
	v_fma_f64 v[127:128], v[127:128], 2.0, -v[103:104]
	;; [unrolled: 1-line block ×8, first 2 shown]
	v_add_f64 v[89:90], v[121:122], -v[89:90]
	v_add_f64 v[91:92], v[123:124], -v[91:92]
	;; [unrolled: 1-line block ×10, first 2 shown]
	s_waitcnt lgkmcnt(0)
	v_add_f64 v[113:114], v[149:150], -v[113:114]
	v_add_f64 v[115:116], v[151:152], -v[115:116]
	v_add_f64 v[111:112], v[101:102], v[111:112]
	v_add_f64 v[109:110], v[103:104], -v[109:110]
	v_add_f64 v[119:120], v[119:120], v[97:98]
	v_add_f64 v[117:118], v[99:100], -v[117:118]
	v_fma_f64 v[125:126], v[125:126], 2.0, -v[141:142]
	v_fma_f64 v[127:128], v[127:128], 2.0, -v[143:144]
	;; [unrolled: 1-line block ×4, first 2 shown]
	s_mov_b32 s4, 0x667f3bcd
	s_mov_b32 s5, 0xbfe6a09e
	;; [unrolled: 1-line block ×4, first 2 shown]
	v_fma_f64 v[121:122], v[121:122], 2.0, -v[89:90]
	v_fma_f64 v[123:124], v[123:124], 2.0, -v[91:92]
	;; [unrolled: 1-line block ×12, first 2 shown]
	v_add_f64 v[107:108], v[107:108], v[89:90]
	v_add_f64 v[105:106], v[91:92], -v[105:106]
	v_add_f64 v[115:116], v[115:116], v[93:94]
	v_add_f64 v[113:114], v[95:96], -v[113:114]
	v_add_f64 v[168:169], v[125:126], -v[133:134]
	;; [unrolled: 1-line block ×3, first 2 shown]
	v_fma_f64 v[133:134], v[119:120], s[6:7], v[111:112]
	v_fma_f64 v[135:136], v[117:118], s[6:7], v[109:110]
	v_add_f64 v[137:138], v[121:122], -v[137:138]
	v_add_f64 v[139:140], v[123:124], -v[139:140]
	;; [unrolled: 1-line block ×4, first 2 shown]
	v_fma_f64 v[89:90], v[89:90], 2.0, -v[107:108]
	v_fma_f64 v[91:92], v[91:92], 2.0, -v[105:106]
	;; [unrolled: 1-line block ×4, first 2 shown]
	v_fma_f64 v[164:165], v[97:98], s[4:5], v[101:102]
	v_fma_f64 v[166:167], v[99:100], s[4:5], v[103:104]
	;; [unrolled: 1-line block ×4, first 2 shown]
	v_fma_f64 v[121:122], v[121:122], 2.0, -v[137:138]
	v_fma_f64 v[123:124], v[123:124], 2.0, -v[139:140]
	;; [unrolled: 1-line block ×4, first 2 shown]
	v_fma_f64 v[164:165], v[99:100], s[6:7], v[164:165]
	v_fma_f64 v[166:167], v[97:98], s[4:5], v[166:167]
	v_add_f64 v[147:148], v[141:142], v[147:148]
	v_add_f64 v[145:146], v[143:144], -v[145:146]
	v_fma_f64 v[97:98], v[93:94], s[4:5], v[89:90]
	v_fma_f64 v[99:100], v[95:96], s[4:5], v[91:92]
	v_fma_f64 v[133:134], v[111:112], 2.0, -v[172:173]
	v_fma_f64 v[135:136], v[109:110], 2.0, -v[174:175]
	v_fma_f64 v[109:110], v[115:116], s[6:7], v[107:108]
	v_fma_f64 v[111:112], v[113:114], s[6:7], v[105:106]
	v_add_f64 v[151:152], v[151:152], v[137:138]
	v_add_f64 v[149:150], v[139:140], -v[149:150]
	v_fma_f64 v[117:118], v[141:142], 2.0, -v[147:148]
	v_fma_f64 v[119:120], v[143:144], 2.0, -v[145:146]
	v_add_f64 v[141:142], v[121:122], -v[129:130]
	v_add_f64 v[143:144], v[123:124], -v[131:132]
	v_fma_f64 v[176:177], v[95:96], s[6:7], v[97:98]
	v_fma_f64 v[178:179], v[93:94], s[4:5], v[99:100]
	;; [unrolled: 1-line block ×4, first 2 shown]
	v_fma_f64 v[109:110], v[137:138], 2.0, -v[151:152]
	v_fma_f64 v[111:112], v[139:140], 2.0, -v[149:150]
	;; [unrolled: 1-line block ×12, first 2 shown]
	v_fma_f64 v[121:122], v[109:110], s[4:5], v[117:118]
	v_fma_f64 v[123:124], v[111:112], s[4:5], v[119:120]
	s_mov_b32 s8, 0xcf328d46
	s_mov_b32 s10, 0xa6aea964
	;; [unrolled: 1-line block ×6, first 2 shown]
	v_add_f64 v[97:98], v[125:126], -v[93:94]
	v_add_f64 v[99:100], v[127:128], -v[95:96]
	v_fma_f64 v[93:94], v[89:90], s[8:9], v[101:102]
	v_fma_f64 v[95:96], v[91:92], s[8:9], v[103:104]
	;; [unrolled: 1-line block ×6, first 2 shown]
	s_mov_b32 s18, s8
	v_fma_f64 v[113:114], v[91:92], s[10:11], v[93:94]
	v_fma_f64 v[115:116], v[89:90], s[16:17], v[95:96]
	v_fma_f64 v[121:122], v[105:106], s[18:19], v[137:138]
	v_fma_f64 v[123:124], v[107:108], s[8:9], v[139:140]
	v_fma_f64 v[109:110], v[117:118], 2.0, -v[129:130]
	v_fma_f64 v[111:112], v[119:120], 2.0, -v[131:132]
	v_fma_f64 v[105:106], v[176:177], s[10:11], v[164:165]
	v_fma_f64 v[107:108], v[178:179], s[10:11], v[166:167]
	v_fma_f64 v[117:118], v[151:152], s[6:7], v[147:148]
	v_fma_f64 v[119:120], v[149:150], s[6:7], v[145:146]
	v_fma_f64 v[137:138], v[180:181], s[18:19], v[172:173]
	v_fma_f64 v[139:140], v[182:183], s[18:19], v[174:175]
	v_fma_f64 v[89:90], v[125:126], 2.0, -v[97:98]
	v_fma_f64 v[91:92], v[127:128], 2.0, -v[99:100]
	;; [unrolled: 1-line block ×6, first 2 shown]
	v_add_f64 v[125:126], v[168:169], v[143:144]
	v_add_f64 v[127:128], v[170:171], -v[141:142]
	v_fma_f64 v[133:134], v[178:179], s[18:19], v[105:106]
	v_fma_f64 v[135:136], v[176:177], s[8:9], v[107:108]
	;; [unrolled: 1-line block ×6, first 2 shown]
	v_fma_f64 v[105:106], v[168:169], 2.0, -v[125:126]
	v_fma_f64 v[107:108], v[170:171], 2.0, -v[127:128]
	;; [unrolled: 1-line block ×8, first 2 shown]
	s_barrier
	s_and_saveexec_b64 s[4:5], vcc
	s_cbranch_execz .LBB0_17
; %bb.16:
	ds_write_b128 v159, v[89:92]
	ds_write_b128 v159, v[93:96] offset:16
	ds_write_b128 v159, v[109:112] offset:32
	;; [unrolled: 1-line block ×15, first 2 shown]
.LBB0_17:
	s_or_b64 exec, exec, s[4:5]
	s_waitcnt lgkmcnt(0)
	s_barrier
	s_and_saveexec_b64 s[4:5], vcc
	s_cbranch_execz .LBB0_19
; %bb.18:
	ds_read_b128 v[89:92], v154
	ds_read_b128 v[93:96], v154 offset:2048
	ds_read_b128 v[109:112], v154 offset:4096
	;; [unrolled: 1-line block ×13, first 2 shown]
	v_or_b32_e32 v141, 0x3800, v154
	v_or_b32_e32 v142, 0x7800, v154
	ds_read_b128 v[145:148], v141
	ds_read_b128 v[141:144], v142
.LBB0_19:
	s_or_b64 exec, exec, s[4:5]
	s_waitcnt lgkmcnt(0)
	s_barrier
	s_and_saveexec_b64 s[4:5], vcc
	s_cbranch_execz .LBB0_21
; %bb.20:
	v_mul_f64 v[164:165], v[19:20], v[109:110]
	v_mul_f64 v[166:167], v[43:44], v[129:130]
	;; [unrolled: 1-line block ×8, first 2 shown]
	v_fma_f64 v[164:165], v[17:18], v[111:112], -v[164:165]
	v_fma_f64 v[166:167], v[41:42], v[131:132], -v[166:167]
	v_fma_f64 v[168:169], v[33:34], v[137:138], v[168:169]
	v_fma_f64 v[170:171], v[57:58], v[149:150], v[170:171]
	v_fma_f64 v[172:173], v[13:14], v[99:100], -v[172:173]
	v_fma_f64 v[174:175], v[1:2], v[105:106], v[174:175]
	v_fma_f64 v[176:177], v[45:46], v[125:126], v[176:177]
	v_mul_f64 v[59:60], v[59:60], v[149:150]
	v_mul_f64 v[178:179], v[27:28], v[147:148]
	v_add_f64 v[137:138], v[164:165], -v[166:167]
	v_mul_f64 v[180:181], v[55:56], v[143:144]
	v_add_f64 v[166:167], v[168:169], -v[170:171]
	v_add_f64 v[149:150], v[91:92], -v[172:173]
	v_mul_f64 v[172:173], v[11:12], v[101:102]
	v_add_f64 v[170:171], v[174:175], -v[176:177]
	v_mul_f64 v[176:177], v[39:40], v[121:122]
	v_fma_f64 v[33:34], v[33:34], v[139:140], -v[35:36]
	v_fma_f64 v[35:36], v[57:58], v[151:152], -v[59:60]
	v_mul_f64 v[19:20], v[19:20], v[111:112]
	v_mul_f64 v[43:44], v[43:44], v[131:132]
	v_fma_f64 v[111:112], v[25:26], v[145:146], v[178:179]
	v_fma_f64 v[57:58], v[9:10], v[103:104], -v[172:173]
	v_fma_f64 v[131:132], v[53:54], v[141:142], v[180:181]
	v_fma_f64 v[59:60], v[37:38], v[123:124], -v[176:177]
	v_mul_f64 v[139:140], v[7:8], v[93:94]
	v_mul_f64 v[151:152], v[31:32], v[113:114]
	;; [unrolled: 1-line block ×4, first 2 shown]
	v_fma_f64 v[17:18], v[17:18], v[109:110], v[19:20]
	v_fma_f64 v[19:20], v[41:42], v[129:130], v[43:44]
	v_add_f64 v[43:44], v[111:112], -v[131:132]
	v_add_f64 v[41:42], v[57:58], -v[59:60]
	v_fma_f64 v[59:60], v[5:6], v[95:96], -v[139:140]
	v_fma_f64 v[109:110], v[29:30], v[115:116], -v[151:152]
	v_fma_f64 v[129:130], v[21:22], v[117:118], v[172:173]
	v_fma_f64 v[131:132], v[49:50], v[133:134], v[176:177]
	v_mul_f64 v[27:28], v[27:28], v[145:146]
	v_mul_f64 v[55:56], v[55:56], v[141:142]
	;; [unrolled: 1-line block ×8, first 2 shown]
	v_add_f64 v[109:110], v[59:60], -v[109:110]
	v_add_f64 v[131:132], v[129:130], -v[131:132]
	v_fma_f64 v[25:26], v[25:26], v[147:148], -v[27:28]
	v_fma_f64 v[27:28], v[53:54], v[143:144], -v[55:56]
	v_fma_f64 v[9:10], v[9:10], v[101:102], v[11:12]
	v_fma_f64 v[11:12], v[37:38], v[121:122], v[39:40]
	v_fma_f64 v[21:22], v[21:22], v[119:120], -v[23:24]
	v_fma_f64 v[23:24], v[49:50], v[135:136], -v[51:52]
	v_fma_f64 v[5:6], v[5:6], v[93:94], v[7:8]
	v_fma_f64 v[7:8], v[29:30], v[113:114], v[31:32]
	v_add_f64 v[139:140], v[137:138], -v[166:167]
	v_add_f64 v[151:152], v[149:150], -v[170:171]
	;; [unrolled: 1-line block ×5, first 2 shown]
	v_mul_f64 v[3:4], v[3:4], v[105:106]
	v_mul_f64 v[29:30], v[47:48], v[125:126]
	;; [unrolled: 1-line block ×3, first 2 shown]
	v_add_f64 v[31:32], v[109:110], -v[131:132]
	v_add_f64 v[27:28], v[25:26], -v[27:28]
	;; [unrolled: 1-line block ×5, first 2 shown]
	s_mov_b32 s6, 0x667f3bcd
	s_mov_b32 s7, 0x3fe6a09e
	v_fma_f64 v[1:2], v[1:2], v[107:108], -v[3:4]
	v_fma_f64 v[3:4], v[45:46], v[127:128], -v[29:30]
	v_fma_f64 v[7:8], v[13:14], v[97:98], v[15:16]
	v_fma_f64 v[13:14], v[139:140], s[6:7], v[151:152]
	v_add_f64 v[15:16], v[35:36], v[19:20]
	v_fma_f64 v[29:30], v[172:173], s[6:7], v[31:32]
	v_add_f64 v[39:40], v[27:28], v[11:12]
	v_add_f64 v[45:46], v[23:24], v[37:38]
	s_mov_b32 s9, 0xbfe6a09e
	s_mov_b32 s8, s6
	v_add_f64 v[3:4], v[1:2], -v[3:4]
	v_add_f64 v[47:48], v[89:90], -v[7:8]
	v_fma_f64 v[49:50], v[15:16], s[8:9], v[13:14]
	s_mov_b32 s10, 0xcf328d46
	v_fma_f64 v[29:30], v[39:40], s[8:9], v[29:30]
	v_fma_f64 v[7:8], v[39:40], s[6:7], v[45:46]
	s_mov_b32 s11, 0x3fed906b
	v_fma_f64 v[55:56], v[91:92], 2.0, -v[149:150]
	v_fma_f64 v[1:2], v[1:2], 2.0, -v[3:4]
	v_add_f64 v[51:52], v[47:48], v[3:4]
	v_fma_f64 v[17:18], v[17:18], 2.0, -v[19:20]
	v_fma_f64 v[91:92], v[168:169], 2.0, -v[166:167]
	v_fma_f64 v[13:14], v[29:30], s[10:11], v[49:50]
	v_fma_f64 v[53:54], v[172:173], s[6:7], v[7:8]
	v_fma_f64 v[59:60], v[59:60], 2.0, -v[109:110]
	v_fma_f64 v[21:22], v[21:22], 2.0, -v[23:24]
	;; [unrolled: 1-line block ×4, first 2 shown]
	s_mov_b32 s16, 0xa6aea964
	s_mov_b32 s17, 0xbfd87de2
	v_fma_f64 v[7:8], v[15:16], s[6:7], v[51:52]
	v_fma_f64 v[3:4], v[53:54], s[16:17], v[13:14]
	v_add_f64 v[93:94], v[55:56], -v[1:2]
	v_add_f64 v[13:14], v[17:18], -v[91:92]
	v_add_f64 v[91:92], v[59:60], -v[21:22]
	v_add_f64 v[1:2], v[9:10], -v[23:24]
	v_fma_f64 v[23:24], v[57:58], 2.0, -v[41:42]
	v_fma_f64 v[25:26], v[25:26], 2.0, -v[27:28]
	v_fma_f64 v[5:6], v[5:6], 2.0, -v[37:38]
	v_fma_f64 v[27:28], v[129:130], 2.0, -v[131:132]
	v_fma_f64 v[57:58], v[164:165], 2.0, -v[137:138]
	v_fma_f64 v[33:34], v[33:34], 2.0, -v[35:36]
	v_fma_f64 v[35:36], v[89:90], 2.0, -v[47:48]
	v_fma_f64 v[89:90], v[174:175], 2.0, -v[170:171]
	v_fma_f64 v[99:100], v[149:150], 2.0, -v[151:152]
	v_fma_f64 v[101:102], v[137:138], 2.0, -v[139:140]
	v_fma_f64 v[15:16], v[19:20], 2.0, -v[15:16]
	v_fma_f64 v[103:104], v[109:110], 2.0, -v[31:32]
	v_fma_f64 v[19:20], v[41:42], 2.0, -v[172:173]
	v_fma_f64 v[11:12], v[11:12], 2.0, -v[39:40]
	v_fma_f64 v[37:38], v[37:38], 2.0, -v[45:46]
	v_fma_f64 v[39:40], v[47:48], 2.0, -v[51:52]
	v_fma_f64 v[43:44], v[139:140], s[6:7], v[7:8]
	v_add_f64 v[95:96], v[93:94], -v[13:14]
	v_add_f64 v[97:98], v[91:92], -v[1:2]
	;; [unrolled: 1-line block ×6, first 2 shown]
	v_fma_f64 v[47:48], v[101:102], s[8:9], v[99:100]
	v_fma_f64 v[89:90], v[19:20], s[8:9], v[103:104]
	;; [unrolled: 1-line block ×6, first 2 shown]
	v_add_f64 v[111:112], v[25:26], v[41:42]
	v_add_f64 v[113:114], v[33:34], v[27:28]
	v_fma_f64 v[47:48], v[15:16], s[8:9], v[47:48]
	v_fma_f64 v[89:90], v[11:12], s[8:9], v[89:90]
	;; [unrolled: 1-line block ×4, first 2 shown]
	v_fma_f64 v[15:16], v[57:58], 2.0, -v[27:28]
	v_fma_f64 v[57:58], v[5:6], 2.0, -v[41:42]
	;; [unrolled: 1-line block ×3, first 2 shown]
	s_mov_b32 s19, 0x3fd87de2
	s_mov_b32 s18, s16
	v_fma_f64 v[55:56], v[55:56], 2.0, -v[93:94]
	v_fma_f64 v[1:2], v[29:30], s[18:19], v[21:22]
	v_fma_f64 v[11:12], v[111:112], s[8:9], v[109:110]
	;; [unrolled: 1-line block ×4, first 2 shown]
	v_add_f64 v[109:110], v[57:58], -v[5:6]
	v_fma_f64 v[35:36], v[35:36], 2.0, -v[33:34]
	v_fma_f64 v[5:6], v[17:18], 2.0, -v[13:14]
	;; [unrolled: 1-line block ×4, first 2 shown]
	v_fma_f64 v[9:10], v[111:112], s[6:7], v[113:114]
	s_mov_b32 s21, 0xbfed906b
	s_mov_b32 s20, s10
	v_fma_f64 v[7:8], v[49:50], 2.0, -v[3:4]
	v_add_f64 v[107:108], v[55:56], -v[15:16]
	v_fma_f64 v[15:16], v[105:106], s[20:21], v[19:20]
	v_fma_f64 v[13:14], v[89:90], s[10:11], v[21:22]
	v_add_f64 v[115:116], v[35:36], -v[5:6]
	v_add_f64 v[117:118], v[59:60], -v[17:18]
	v_fma_f64 v[49:50], v[151:152], 2.0, -v[49:50]
	v_fma_f64 v[29:30], v[31:32], 2.0, -v[29:30]
	;; [unrolled: 1-line block ×12, first 2 shown]
	v_fma_f64 v[9:10], v[97:98], s[6:7], v[9:10]
	v_fma_f64 v[97:98], v[51:52], 2.0, -v[43:44]
	v_fma_f64 v[27:28], v[47:48], 2.0, -v[15:16]
	;; [unrolled: 1-line block ×3, first 2 shown]
	v_fma_f64 v[119:120], v[29:30], s[16:17], v[49:50]
	v_fma_f64 v[101:102], v[55:56], 2.0, -v[107:108]
	v_fma_f64 v[47:48], v[59:60], 2.0, -v[117:118]
	;; [unrolled: 1-line block ×5, first 2 shown]
	v_fma_f64 v[33:34], v[91:92], s[8:9], v[93:94]
	v_fma_f64 v[43:44], v[89:90], s[20:21], v[95:96]
	;; [unrolled: 1-line block ×6, first 2 shown]
	v_add_f64 v[47:48], v[101:102], -v[47:48]
	v_add_f64 v[45:46], v[103:104], -v[51:52]
	v_fma_f64 v[39:40], v[41:42], s[8:9], v[33:34]
	v_fma_f64 v[43:44], v[37:38], s[16:17], v[43:44]
	;; [unrolled: 1-line block ×5, first 2 shown]
	v_add_f64 v[19:20], v[107:108], -v[109:110]
	v_add_f64 v[17:18], v[115:116], v[117:118]
	v_fma_f64 v[91:92], v[101:102], 2.0, -v[47:48]
	v_fma_f64 v[89:90], v[103:104], 2.0, -v[45:46]
	;; [unrolled: 1-line block ×10, first 2 shown]
	s_movk_i32 s6, 0x700
	v_fma_f64 v[21:22], v[113:114], 2.0, -v[9:10]
	v_and_or_b32 v93, v154, s6, v155
	v_lshlrev_b32_e32 v93, 4, v93
	ds_write_b128 v93, v[89:92]
	ds_write_b128 v93, v[57:60] offset:256
	ds_write_b128 v93, v[53:56] offset:512
	;; [unrolled: 1-line block ×15, first 2 shown]
.LBB0_21:
	s_or_b64 exec, exec, s[4:5]
	s_waitcnt lgkmcnt(0)
	s_barrier
	ds_read_b128 v[1:4], v154
	ds_read_b128 v[5:8], v154 offset:4096
	ds_read_b128 v[9:12], v154 offset:8192
	;; [unrolled: 1-line block ×5, first 2 shown]
	s_waitcnt lgkmcnt(4)
	v_mul_f64 v[33:34], v[75:76], v[7:8]
	v_mul_f64 v[35:36], v[75:76], v[5:6]
	s_waitcnt lgkmcnt(3)
	v_mul_f64 v[37:38], v[71:72], v[11:12]
	v_mul_f64 v[39:40], v[71:72], v[9:10]
	;; [unrolled: 3-line block ×3, first 2 shown]
	ds_read_b128 v[25:28], v154 offset:24576
	ds_read_b128 v[29:32], v154 offset:28672
	s_mov_b32 s4, 0x667f3bcd
	v_fma_f64 v[5:6], v[73:74], v[5:6], v[33:34]
	v_fma_f64 v[7:8], v[73:74], v[7:8], -v[35:36]
	v_fma_f64 v[9:10], v[69:70], v[9:10], v[37:38]
	v_fma_f64 v[11:12], v[69:70], v[11:12], -v[39:40]
	;; [unrolled: 2-line block ×3, first 2 shown]
	s_waitcnt lgkmcnt(3)
	v_mul_f64 v[33:34], v[63:64], v[19:20]
	v_mul_f64 v[35:36], v[63:64], v[17:18]
	s_waitcnt lgkmcnt(1)
	v_mul_f64 v[37:38], v[87:88], v[27:28]
	v_mul_f64 v[39:40], v[87:88], v[25:26]
	v_mul_f64 v[41:42], v[83:84], v[23:24]
	v_mul_f64 v[43:44], v[83:84], v[21:22]
	s_waitcnt lgkmcnt(0)
	v_mul_f64 v[45:46], v[79:80], v[31:32]
	v_mul_f64 v[47:48], v[79:80], v[29:30]
	v_fma_f64 v[17:18], v[61:62], v[17:18], v[33:34]
	v_fma_f64 v[19:20], v[61:62], v[19:20], -v[35:36]
	v_fma_f64 v[25:26], v[85:86], v[25:26], v[37:38]
	v_fma_f64 v[27:28], v[85:86], v[27:28], -v[39:40]
	;; [unrolled: 2-line block ×4, first 2 shown]
	v_add_f64 v[17:18], v[1:2], -v[17:18]
	v_add_f64 v[19:20], v[3:4], -v[19:20]
	v_add_f64 v[25:26], v[9:10], -v[25:26]
	v_add_f64 v[27:28], v[11:12], -v[27:28]
	v_add_f64 v[21:22], v[5:6], -v[21:22]
	v_add_f64 v[23:24], v[7:8], -v[23:24]
	v_add_f64 v[29:30], v[13:14], -v[29:30]
	v_add_f64 v[31:32], v[15:16], -v[31:32]
	v_fma_f64 v[1:2], v[1:2], 2.0, -v[17:18]
	v_fma_f64 v[3:4], v[3:4], 2.0, -v[19:20]
	v_fma_f64 v[9:10], v[9:10], 2.0, -v[25:26]
	v_fma_f64 v[11:12], v[11:12], 2.0, -v[27:28]
	v_fma_f64 v[5:6], v[5:6], 2.0, -v[21:22]
	v_fma_f64 v[7:8], v[7:8], 2.0, -v[23:24]
	v_fma_f64 v[13:14], v[13:14], 2.0, -v[29:30]
	v_fma_f64 v[15:16], v[15:16], 2.0, -v[31:32]
	v_add_f64 v[33:34], v[17:18], v[27:28]
	v_add_f64 v[35:36], v[19:20], -v[25:26]
	v_add_f64 v[25:26], v[21:22], v[31:32]
	v_add_f64 v[27:28], v[23:24], -v[29:30]
	v_add_f64 v[29:30], v[1:2], -v[9:10]
	;; [unrolled: 1-line block ×5, first 2 shown]
	v_fma_f64 v[37:38], v[17:18], 2.0, -v[33:34]
	v_fma_f64 v[39:40], v[19:20], 2.0, -v[35:36]
	;; [unrolled: 1-line block ×8, first 2 shown]
	s_mov_b32 s5, 0xbfe6a09e
	s_mov_b32 s7, 0x3fe6a09e
	v_fma_f64 v[5:6], v[13:14], s[4:5], v[37:38]
	v_fma_f64 v[7:8], v[15:16], s[4:5], v[39:40]
	s_mov_b32 s6, s4
	v_fma_f64 v[21:22], v[25:26], s[6:7], v[33:34]
	v_fma_f64 v[23:24], v[27:28], s[6:7], v[35:36]
	v_add_f64 v[1:2], v[17:18], -v[1:2]
	v_add_f64 v[3:4], v[19:20], -v[3:4]
	v_add_f64 v[9:10], v[29:30], v[9:10]
	v_fma_f64 v[5:6], v[15:16], s[6:7], v[5:6]
	v_fma_f64 v[7:8], v[13:14], s[4:5], v[7:8]
	v_add_f64 v[11:12], v[31:32], -v[11:12]
	v_fma_f64 v[13:14], v[27:28], s[6:7], v[21:22]
	v_fma_f64 v[15:16], v[25:26], s[4:5], v[23:24]
	v_fma_f64 v[17:18], v[17:18], 2.0, -v[1:2]
	v_fma_f64 v[19:20], v[19:20], 2.0, -v[3:4]
	;; [unrolled: 1-line block ×8, first 2 shown]
	ds_write_b128 v154, v[17:20]
	ds_write_b128 v154, v[21:24] offset:4096
	ds_write_b128 v154, v[25:28] offset:8192
	;; [unrolled: 1-line block ×7, first 2 shown]
	s_waitcnt lgkmcnt(0)
	s_barrier
	s_and_b64 exec, exec, vcc
	s_cbranch_execz .LBB0_23
; %bb.22:
	global_load_dwordx4 v[1:4], v154, s[12:13]
	global_load_dwordx4 v[5:8], v154, s[12:13] offset:2048
	global_load_dwordx4 v[9:12], v163, s[12:13]
	v_or_b32_e32 v81, 0x180, v0
	v_lshlrev_b32_e32 v17, 4, v81
	global_load_dwordx4 v[13:16], v162, s[12:13]
	v_or_b32_e32 v85, 0x280, v0
	global_load_dwordx4 v[17:20], v17, s[12:13]
	v_lshlrev_b32_e32 v53, 4, v85
	ds_read_b128 v[21:24], v154
	ds_read_b128 v[25:28], v154 offset:2048
	ds_read_b128 v[29:32], v154 offset:4096
	ds_read_b128 v[33:36], v154 offset:6144
	ds_read_b128 v[37:40], v154 offset:8192
	ds_read_b128 v[41:44], v154 offset:10240
	global_load_dwordx4 v[49:52], v160, s[12:13]
	global_load_dwordx4 v[45:48], v161, s[12:13]
	v_mad_u64_u32 v[69:70], s[4:5], s2, v153, 0
	global_load_dwordx4 v[53:56], v53, s[12:13]
	v_mad_u64_u32 v[71:72], s[4:5], s0, v0, 0
	v_or_b32_e32 v86, 0x380, v0
	v_or_b32_e32 v80, 0x80, v0
	;; [unrolled: 1-line block ×4, first 2 shown]
	v_lshlrev_b32_e32 v77, 4, v86
	v_mad_u64_u32 v[73:74], s[6:7], s0, v80, 0
	v_lshlrev_b32_e32 v78, 4, v87
	v_lshlrev_b32_e32 v79, 4, v88
	global_load_dwordx4 v[57:60], v77, s[12:13]
	global_load_dwordx4 v[61:64], v78, s[12:13]
	;; [unrolled: 1-line block ×3, first 2 shown]
	v_mad_u64_u32 v[77:78], s[2:3], s3, v153, v[70:71]
	v_mad_u64_u32 v[75:76], s[6:7], s0, v81, 0
	;; [unrolled: 1-line block ×3, first 2 shown]
	v_mov_b32_e32 v70, v74
	v_mad_u64_u32 v[79:80], s[2:3], s1, v80, v[70:71]
	v_mov_b32_e32 v70, v77
	v_mov_b32_e32 v72, v76
	v_lshlrev_b64 v[69:70], 4, v[69:70]
	v_mad_u64_u32 v[80:81], s[2:3], s1, v81, v[72:73]
	v_mov_b32_e32 v72, v78
	v_mov_b32_e32 v82, s15
	v_lshlrev_b64 v[71:72], 4, v[71:72]
	v_add_co_u32_e32 v90, vcc, s14, v69
	v_mov_b32_e32 v74, v79
	v_addc_co_u32_e32 v91, vcc, v82, v70, vcc
	v_lshlrev_b64 v[73:74], 4, v[73:74]
	v_add_co_u32_e32 v69, vcc, v90, v71
	v_addc_co_u32_e32 v70, vcc, v91, v72, vcc
	v_add_co_u32_e32 v71, vcc, v90, v73
	v_addc_co_u32_e32 v72, vcc, v91, v74, vcc
	v_mov_b32_e32 v76, v80
	s_lshl_b64 s[4:5], s[0:1], 12
	v_mov_b32_e32 v89, s5
	v_lshlrev_b64 v[75:76], 4, v[75:76]
	s_waitcnt vmcnt(10) lgkmcnt(5)
	v_mul_f64 v[73:74], v[23:24], v[3:4]
	v_mul_f64 v[3:4], v[21:22], v[3:4]
	s_waitcnt vmcnt(9) lgkmcnt(4)
	v_mul_f64 v[77:78], v[27:28], v[7:8]
	v_mul_f64 v[7:8], v[25:26], v[7:8]
	s_waitcnt vmcnt(8) lgkmcnt(3)
	v_mul_f64 v[79:80], v[31:32], v[11:12]
	v_mul_f64 v[11:12], v[29:30], v[11:12]
	s_waitcnt vmcnt(7) lgkmcnt(1)
	v_mul_f64 v[81:82], v[39:40], v[15:16]
	v_mul_f64 v[83:84], v[37:38], v[15:16]
	v_fma_f64 v[21:22], v[21:22], v[1:2], v[73:74]
	v_fma_f64 v[3:4], v[1:2], v[23:24], -v[3:4]
	s_waitcnt vmcnt(6)
	v_mul_f64 v[15:16], v[35:36], v[19:20]
	v_mul_f64 v[19:20], v[33:34], v[19:20]
	v_fma_f64 v[23:24], v[25:26], v[5:6], v[77:78]
	v_fma_f64 v[7:8], v[5:6], v[27:28], -v[7:8]
	v_fma_f64 v[25:26], v[29:30], v[9:10], v[79:80]
	v_fma_f64 v[11:12], v[9:10], v[31:32], -v[11:12]
	v_ldexp_f64 v[1:2], v[21:22], -11
	v_ldexp_f64 v[3:4], v[3:4], -11
	v_fma_f64 v[15:16], v[33:34], v[17:18], v[15:16]
	v_fma_f64 v[17:18], v[17:18], v[35:36], -v[19:20]
	v_ldexp_f64 v[5:6], v[23:24], -11
	v_ldexp_f64 v[7:8], v[7:8], -11
	v_ldexp_f64 v[9:10], v[25:26], -11
	v_ldexp_f64 v[11:12], v[11:12], -11
	v_add_co_u32_e32 v19, vcc, s4, v69
	v_addc_co_u32_e32 v20, vcc, v70, v89, vcc
	global_store_dwordx4 v[69:70], v[1:4], off
	global_store_dwordx4 v[71:72], v[5:8], off
	;; [unrolled: 1-line block ×3, first 2 shown]
	s_waitcnt vmcnt(6) lgkmcnt(0)
	v_mul_f64 v[5:6], v[43:44], v[55:56]
	v_fma_f64 v[21:22], v[37:38], v[13:14], v[81:82]
	v_ldexp_f64 v[15:16], v[15:16], -11
	v_ldexp_f64 v[17:18], v[17:18], -11
	v_fma_f64 v[3:4], v[13:14], v[39:40], -v[83:84]
	v_add_co_u32_e32 v1, vcc, v90, v75
	v_addc_co_u32_e32 v2, vcc, v91, v76, vcc
	v_fma_f64 v[9:10], v[41:42], v[53:54], v[5:6]
	global_load_dwordx4 v[5:8], v157, s[12:13]
	v_mul_f64 v[11:12], v[41:42], v[55:56]
	global_store_dwordx4 v[1:2], v[15:18], off
	v_ldexp_f64 v[1:2], v[21:22], -11
	v_ldexp_f64 v[3:4], v[3:4], -11
	v_add_co_u32_e32 v21, vcc, s4, v19
	v_addc_co_u32_e32 v22, vcc, v20, v89, vcc
	v_mad_u64_u32 v[23:24], s[2:3], s0, v85, 0
	v_fma_f64 v[11:12], v[53:54], v[43:44], -v[11:12]
	global_store_dwordx4 v[21:22], v[1:4], off
	ds_read_b128 v[1:4], v154 offset:12288
	ds_read_b128 v[13:16], v154 offset:14336
	v_mov_b32_e32 v17, v24
	v_mad_u64_u32 v[29:30], s[2:3], s1, v85, v[17:18]
	s_waitcnt lgkmcnt(1)
	v_mul_f64 v[25:26], v[3:4], v[47:48]
	v_mul_f64 v[27:28], v[1:2], v[47:48]
	v_or_b32_e32 v47, 0x580, v0
	v_lshlrev_b32_e32 v17, 4, v47
	global_load_dwordx4 v[17:20], v17, s[12:13]
	v_ldexp_f64 v[9:10], v[9:10], -11
	v_ldexp_f64 v[11:12], v[11:12], -11
	v_mov_b32_e32 v24, v29
	v_lshlrev_b64 v[23:24], 4, v[23:24]
	v_fma_f64 v[1:2], v[1:2], v[45:46], v[25:26]
	v_add_co_u32_e32 v23, vcc, v90, v23
	v_addc_co_u32_e32 v24, vcc, v91, v24, vcc
	global_store_dwordx4 v[23:24], v[9:12], off
	global_load_dwordx4 v[9:12], v156, s[12:13]
	v_fma_f64 v[3:4], v[45:46], v[3:4], -v[27:28]
	s_waitcnt vmcnt(11) lgkmcnt(0)
	v_mul_f64 v[25:26], v[15:16], v[59:60]
	v_mul_f64 v[27:28], v[13:14], v[59:60]
	v_add_co_u32_e32 v29, vcc, s4, v21
	v_addc_co_u32_e32 v30, vcc, v22, v89, vcc
	ds_read_b128 v[21:24], v154 offset:16384
	v_or_b32_e32 v45, 0x680, v0
	v_lshlrev_b32_e32 v0, 4, v45
	v_ldexp_f64 v[1:2], v[1:2], -11
	v_ldexp_f64 v[3:4], v[3:4], -11
	v_fma_f64 v[33:34], v[13:14], v[57:58], v[25:26]
	v_fma_f64 v[35:36], v[57:58], v[15:16], -v[27:28]
	ds_read_b128 v[13:16], v154 offset:18432
	s_waitcnt lgkmcnt(1)
	v_mul_f64 v[37:38], v[23:24], v[51:52]
	v_mul_f64 v[39:40], v[21:22], v[51:52]
	global_load_dwordx4 v[25:28], v0, s[12:13]
	v_mad_u64_u32 v[31:32], s[2:3], s0, v86, 0
	global_store_dwordx4 v[29:30], v[1:4], off
	v_mad_u64_u32 v[41:42], s[2:3], s1, v86, v[32:33]
	v_ldexp_f64 v[0:1], v[33:34], -11
	v_ldexp_f64 v[2:3], v[35:36], -11
	v_fma_f64 v[33:34], v[21:22], v[49:50], v[37:38]
	v_fma_f64 v[35:36], v[49:50], v[23:24], -v[39:40]
	global_load_dwordx4 v[21:24], v158, s[12:13]
	v_mov_b32_e32 v32, v41
	v_lshlrev_b64 v[31:32], 4, v[31:32]
	v_mad_u64_u32 v[39:40], s[2:3], s0, v87, 0
	v_add_co_u32_e32 v31, vcc, v90, v31
	v_addc_co_u32_e32 v32, vcc, v91, v32, vcc
	global_store_dwordx4 v[31:32], v[0:3], off
	v_add_co_u32_e32 v37, vcc, s4, v29
	v_ldexp_f64 v[0:1], v[33:34], -11
	v_ldexp_f64 v[2:3], v[35:36], -11
	s_waitcnt vmcnt(14) lgkmcnt(0)
	v_mul_f64 v[33:34], v[15:16], v[63:64]
	v_mul_f64 v[35:36], v[13:14], v[63:64]
	v_addc_co_u32_e32 v38, vcc, v30, v89, vcc
	ds_read_b128 v[29:32], v154 offset:20480
	v_mov_b32_e32 v4, v40
	s_waitcnt vmcnt(9)
	v_mad_u64_u32 v[43:44], s[2:3], s1, v87, v[4:5]
	v_fma_f64 v[33:34], v[13:14], v[61:62], v[33:34]
	v_fma_f64 v[35:36], v[61:62], v[15:16], -v[35:36]
	ds_read_b128 v[13:16], v154 offset:22528
	s_waitcnt lgkmcnt(1)
	v_mul_f64 v[41:42], v[31:32], v[7:8]
	v_mul_f64 v[7:8], v[29:30], v[7:8]
	global_store_dwordx4 v[37:38], v[0:3], off
	v_mov_b32_e32 v40, v43
	v_ldexp_f64 v[0:1], v[33:34], -11
	v_ldexp_f64 v[2:3], v[35:36], -11
	v_mad_u64_u32 v[33:34], s[2:3], s0, v47, 0
	v_fma_f64 v[29:30], v[29:30], v[5:6], v[41:42]
	v_fma_f64 v[4:5], v[5:6], v[31:32], -v[7:8]
	v_lshlrev_b64 v[6:7], 4, v[39:40]
	v_mov_b32_e32 v8, v34
	v_add_co_u32_e32 v6, vcc, v90, v6
	v_addc_co_u32_e32 v7, vcc, v91, v7, vcc
	global_store_dwordx4 v[6:7], v[0:3], off
	v_add_co_u32_e32 v31, vcc, s4, v37
	v_ldexp_f64 v[0:1], v[29:30], -11
	s_waitcnt vmcnt(8) lgkmcnt(0)
	v_mul_f64 v[29:30], v[15:16], v[19:20]
	v_mul_f64 v[19:20], v[13:14], v[19:20]
	v_ldexp_f64 v[2:3], v[4:5], -11
	ds_read_b128 v[4:7], v154 offset:24576
	v_addc_co_u32_e32 v32, vcc, v38, v89, vcc
	s_waitcnt vmcnt(6)
	v_mad_u64_u32 v[34:35], s[2:3], s1, v47, v[8:9]
	v_fma_f64 v[29:30], v[13:14], v[17:18], v[29:30]
	v_fma_f64 v[17:18], v[17:18], v[15:16], -v[19:20]
	ds_read_b128 v[13:16], v154 offset:26624
	s_waitcnt lgkmcnt(1)
	v_mul_f64 v[19:20], v[6:7], v[11:12]
	v_mul_f64 v[11:12], v[4:5], v[11:12]
	global_store_dwordx4 v[31:32], v[0:3], off
	v_fma_f64 v[4:5], v[4:5], v[9:10], v[19:20]
	v_ldexp_f64 v[0:1], v[29:30], -11
	v_ldexp_f64 v[2:3], v[17:18], -11
	v_fma_f64 v[6:7], v[9:10], v[6:7], -v[11:12]
	v_lshlrev_b64 v[8:9], 4, v[33:34]
	s_waitcnt vmcnt(6) lgkmcnt(0)
	v_mul_f64 v[10:11], v[13:14], v[27:28]
	v_add_co_u32_e32 v8, vcc, v90, v8
	v_addc_co_u32_e32 v9, vcc, v91, v9, vcc
	global_store_dwordx4 v[8:9], v[0:3], off
	v_mul_f64 v[8:9], v[15:16], v[27:28]
	v_ldexp_f64 v[0:1], v[4:5], -11
	v_ldexp_f64 v[2:3], v[6:7], -11
	ds_read_b128 v[4:7], v154 offset:28672
	v_mad_u64_u32 v[19:20], s[2:3], s0, v45, 0
	v_add_co_u32_e32 v17, vcc, s4, v31
	v_fma_f64 v[12:13], v[13:14], v[25:26], v[8:9]
	v_fma_f64 v[14:15], v[25:26], v[15:16], -v[10:11]
	ds_read_b128 v[8:11], v154 offset:30720
	s_waitcnt vmcnt(5) lgkmcnt(1)
	v_mul_f64 v[25:26], v[6:7], v[23:24]
	v_mul_f64 v[23:24], v[4:5], v[23:24]
	v_mov_b32_e32 v16, v20
	v_mad_u64_u32 v[27:28], s[2:3], s1, v45, v[16:17]
	v_addc_co_u32_e32 v18, vcc, v32, v89, vcc
	v_mov_b32_e32 v20, v27
	global_store_dwordx4 v[17:18], v[0:3], off
	v_fma_f64 v[4:5], v[4:5], v[21:22], v[25:26]
	v_ldexp_f64 v[0:1], v[12:13], -11
	v_ldexp_f64 v[2:3], v[14:15], -11
	v_lshlrev_b64 v[12:13], 4, v[19:20]
	v_fma_f64 v[6:7], v[21:22], v[6:7], -v[23:24]
	s_waitcnt lgkmcnt(0)
	v_mul_f64 v[14:15], v[10:11], v[67:68]
	v_mul_f64 v[19:20], v[8:9], v[67:68]
	v_add_co_u32_e32 v12, vcc, v90, v12
	v_addc_co_u32_e32 v13, vcc, v91, v13, vcc
	global_store_dwordx4 v[12:13], v[0:3], off
	s_nop 0
	v_ldexp_f64 v[0:1], v[4:5], -11
	v_ldexp_f64 v[2:3], v[6:7], -11
	v_fma_f64 v[4:5], v[8:9], v[65:66], v[14:15]
	v_fma_f64 v[6:7], v[65:66], v[10:11], -v[19:20]
	v_mad_u64_u32 v[8:9], s[2:3], s0, v88, 0
	v_add_co_u32_e32 v10, vcc, s4, v17
	v_mad_u64_u32 v[12:13], s[0:1], s1, v88, v[9:10]
	v_ldexp_f64 v[4:5], v[4:5], -11
	v_ldexp_f64 v[6:7], v[6:7], -11
	v_addc_co_u32_e32 v11, vcc, v18, v89, vcc
	v_mov_b32_e32 v9, v12
	global_store_dwordx4 v[10:11], v[0:3], off
	s_nop 0
	v_lshlrev_b64 v[0:1], 4, v[8:9]
	v_add_co_u32_e32 v0, vcc, v90, v0
	v_addc_co_u32_e32 v1, vcc, v91, v1, vcc
	global_store_dwordx4 v[0:1], v[4:7], off
.LBB0_23:
	s_endpgm
	.section	.rodata,"a",@progbits
	.p2align	6, 0x0
	.amdhsa_kernel bluestein_single_back_len2048_dim1_dp_op_CI_CI
		.amdhsa_group_segment_fixed_size 32768
		.amdhsa_private_segment_fixed_size 0
		.amdhsa_kernarg_size 104
		.amdhsa_user_sgpr_count 6
		.amdhsa_user_sgpr_private_segment_buffer 1
		.amdhsa_user_sgpr_dispatch_ptr 0
		.amdhsa_user_sgpr_queue_ptr 0
		.amdhsa_user_sgpr_kernarg_segment_ptr 1
		.amdhsa_user_sgpr_dispatch_id 0
		.amdhsa_user_sgpr_flat_scratch_init 0
		.amdhsa_user_sgpr_private_segment_size 0
		.amdhsa_uses_dynamic_stack 0
		.amdhsa_system_sgpr_private_segment_wavefront_offset 0
		.amdhsa_system_sgpr_workgroup_id_x 1
		.amdhsa_system_sgpr_workgroup_id_y 0
		.amdhsa_system_sgpr_workgroup_id_z 0
		.amdhsa_system_sgpr_workgroup_info 0
		.amdhsa_system_vgpr_workitem_id 0
		.amdhsa_next_free_vgpr 193
		.amdhsa_next_free_sgpr 22
		.amdhsa_reserve_vcc 1
		.amdhsa_reserve_flat_scratch 0
		.amdhsa_float_round_mode_32 0
		.amdhsa_float_round_mode_16_64 0
		.amdhsa_float_denorm_mode_32 3
		.amdhsa_float_denorm_mode_16_64 3
		.amdhsa_dx10_clamp 1
		.amdhsa_ieee_mode 1
		.amdhsa_fp16_overflow 0
		.amdhsa_exception_fp_ieee_invalid_op 0
		.amdhsa_exception_fp_denorm_src 0
		.amdhsa_exception_fp_ieee_div_zero 0
		.amdhsa_exception_fp_ieee_overflow 0
		.amdhsa_exception_fp_ieee_underflow 0
		.amdhsa_exception_fp_ieee_inexact 0
		.amdhsa_exception_int_div_zero 0
	.end_amdhsa_kernel
	.text
.Lfunc_end0:
	.size	bluestein_single_back_len2048_dim1_dp_op_CI_CI, .Lfunc_end0-bluestein_single_back_len2048_dim1_dp_op_CI_CI
                                        ; -- End function
	.section	.AMDGPU.csdata,"",@progbits
; Kernel info:
; codeLenInByte = 13920
; NumSgprs: 26
; NumVgprs: 193
; ScratchSize: 0
; MemoryBound: 0
; FloatMode: 240
; IeeeMode: 1
; LDSByteSize: 32768 bytes/workgroup (compile time only)
; SGPRBlocks: 3
; VGPRBlocks: 48
; NumSGPRsForWavesPerEU: 26
; NumVGPRsForWavesPerEU: 193
; Occupancy: 1
; WaveLimiterHint : 1
; COMPUTE_PGM_RSRC2:SCRATCH_EN: 0
; COMPUTE_PGM_RSRC2:USER_SGPR: 6
; COMPUTE_PGM_RSRC2:TRAP_HANDLER: 0
; COMPUTE_PGM_RSRC2:TGID_X_EN: 1
; COMPUTE_PGM_RSRC2:TGID_Y_EN: 0
; COMPUTE_PGM_RSRC2:TGID_Z_EN: 0
; COMPUTE_PGM_RSRC2:TIDIG_COMP_CNT: 0
	.type	__hip_cuid_2936443273f9fcd6,@object ; @__hip_cuid_2936443273f9fcd6
	.section	.bss,"aw",@nobits
	.globl	__hip_cuid_2936443273f9fcd6
__hip_cuid_2936443273f9fcd6:
	.byte	0                               ; 0x0
	.size	__hip_cuid_2936443273f9fcd6, 1

	.ident	"AMD clang version 19.0.0git (https://github.com/RadeonOpenCompute/llvm-project roc-6.4.0 25133 c7fe45cf4b819c5991fe208aaa96edf142730f1d)"
	.section	".note.GNU-stack","",@progbits
	.addrsig
	.addrsig_sym __hip_cuid_2936443273f9fcd6
	.amdgpu_metadata
---
amdhsa.kernels:
  - .args:
      - .actual_access:  read_only
        .address_space:  global
        .offset:         0
        .size:           8
        .value_kind:     global_buffer
      - .actual_access:  read_only
        .address_space:  global
        .offset:         8
        .size:           8
        .value_kind:     global_buffer
      - .actual_access:  read_only
        .address_space:  global
        .offset:         16
        .size:           8
        .value_kind:     global_buffer
      - .actual_access:  read_only
        .address_space:  global
        .offset:         24
        .size:           8
        .value_kind:     global_buffer
      - .actual_access:  read_only
        .address_space:  global
        .offset:         32
        .size:           8
        .value_kind:     global_buffer
      - .offset:         40
        .size:           8
        .value_kind:     by_value
      - .address_space:  global
        .offset:         48
        .size:           8
        .value_kind:     global_buffer
      - .address_space:  global
        .offset:         56
        .size:           8
        .value_kind:     global_buffer
      - .address_space:  global
        .offset:         64
        .size:           8
        .value_kind:     global_buffer
      - .address_space:  global
        .offset:         72
        .size:           8
        .value_kind:     global_buffer
      - .offset:         80
        .size:           4
        .value_kind:     by_value
      - .address_space:  global
        .offset:         88
        .size:           8
        .value_kind:     global_buffer
      - .address_space:  global
        .offset:         96
        .size:           8
        .value_kind:     global_buffer
    .group_segment_fixed_size: 32768
    .kernarg_segment_align: 8
    .kernarg_segment_size: 104
    .language:       OpenCL C
    .language_version:
      - 2
      - 0
    .max_flat_workgroup_size: 256
    .name:           bluestein_single_back_len2048_dim1_dp_op_CI_CI
    .private_segment_fixed_size: 0
    .sgpr_count:     26
    .sgpr_spill_count: 0
    .symbol:         bluestein_single_back_len2048_dim1_dp_op_CI_CI.kd
    .uniform_work_group_size: 1
    .uses_dynamic_stack: false
    .vgpr_count:     193
    .vgpr_spill_count: 0
    .wavefront_size: 64
amdhsa.target:   amdgcn-amd-amdhsa--gfx906
amdhsa.version:
  - 1
  - 2
...

	.end_amdgpu_metadata
